;; amdgpu-corpus repo=ROCm/rocFFT kind=compiled arch=gfx1030 opt=O3
	.text
	.amdgcn_target "amdgcn-amd-amdhsa--gfx1030"
	.amdhsa_code_object_version 6
	.protected	fft_rtc_fwd_len112_factors_7_2_8_wgs_64_tpt_8_dim3_dp_op_CI_CI_sbrc_aligned_dirReg ; -- Begin function fft_rtc_fwd_len112_factors_7_2_8_wgs_64_tpt_8_dim3_dp_op_CI_CI_sbrc_aligned_dirReg
	.globl	fft_rtc_fwd_len112_factors_7_2_8_wgs_64_tpt_8_dim3_dp_op_CI_CI_sbrc_aligned_dirReg
	.p2align	8
	.type	fft_rtc_fwd_len112_factors_7_2_8_wgs_64_tpt_8_dim3_dp_op_CI_CI_sbrc_aligned_dirReg,@function
fft_rtc_fwd_len112_factors_7_2_8_wgs_64_tpt_8_dim3_dp_op_CI_CI_sbrc_aligned_dirReg: ; @fft_rtc_fwd_len112_factors_7_2_8_wgs_64_tpt_8_dim3_dp_op_CI_CI_sbrc_aligned_dirReg
; %bb.0:
	s_clause 0x1
	s_load_dwordx8 s[8:15], s[4:5], 0x0
	s_load_dwordx4 s[16:19], s[4:5], 0x50
	s_waitcnt lgkmcnt(0)
	s_load_dwordx4 s[20:23], s[10:11], 0x8
	s_waitcnt lgkmcnt(0)
	s_add_i32 s0, s20, -1
	s_lshr_b32 s7, s0, 3
	s_add_i32 s7, s7, 1
	v_cvt_f32_u32_e32 v1, s7
	s_sub_i32 s1, 0, s7
	v_rcp_iflag_f32_e32 v1, v1
	v_mul_f32_e32 v1, 0x4f7ffffe, v1
	v_cvt_u32_f32_e32 v1, v1
	v_readfirstlane_b32 s0, v1
	s_mul_i32 s1, s1, s0
	s_mul_hi_u32 s1, s0, s1
	s_add_i32 s0, s0, s1
	s_mul_hi_u32 s10, s6, s0
	s_load_dwordx4 s[0:3], s[12:13], 0x0
	s_mul_i32 s4, s10, s7
	s_waitcnt lgkmcnt(0)
	s_sub_i32 s3, s6, s4
	s_add_i32 s4, s10, 1
	s_sub_i32 s5, s3, s7
	s_cmp_ge_u32 s3, s7
	s_cselect_b32 s4, s4, s10
	s_cselect_b32 s3, s5, s3
	s_add_i32 s10, s4, 1
	s_cmp_ge_u32 s3, s7
	s_mov_b32 s5, 0
	s_cselect_b32 s4, s10, s4
	v_cmp_lt_u64_e64 s3, s[4:5], s[22:23]
	s_mov_b64 s[10:11], s[4:5]
	s_and_b32 vcc_lo, exec_lo, s3
	s_cbranch_vccnz .LBB0_2
; %bb.1:
	v_cvt_f32_u32_e32 v1, s22
	s_sub_i32 s10, 0, s22
	v_rcp_iflag_f32_e32 v1, v1
	v_mul_f32_e32 v1, 0x4f7ffffe, v1
	v_cvt_u32_f32_e32 v1, v1
	v_readfirstlane_b32 s3, v1
	s_mul_i32 s10, s10, s3
	s_mul_hi_u32 s10, s3, s10
	s_add_i32 s3, s3, s10
	s_mul_hi_u32 s3, s4, s3
	s_mul_i32 s3, s3, s22
	s_sub_i32 s3, s4, s3
	s_sub_i32 s10, s3, s22
	s_cmp_ge_u32 s3, s22
	s_cselect_b32 s3, s10, s3
	s_sub_i32 s10, s3, s22
	s_cmp_ge_u32 s3, s22
	s_cselect_b32 s10, s10, s3
.LBB0_2:
	s_mul_i32 s3, s7, s22
	v_or_b32_e32 v4, 64, v0
	v_cvt_f32_u32_e32 v1, s3
	v_mov_b32_e32 v25, 0x24a
	v_mad_u64_u32 v[6:7], null, s0, v0, 0
	v_or_b32_e32 v5, 0x80, v0
	v_rcp_iflag_f32_e32 v1, v1
	v_mul_u32_u24_sdwa v2, v4, v25 dst_sel:DWORD dst_unused:UNUSED_PAD src0_sel:WORD_0 src1_sel:DWORD
	s_load_dwordx4 s[20:23], s[12:13], 0x10
	s_mul_i32 s4, s4, s7
	v_mul_u32_u24_sdwa v8, v5, v25 dst_sel:DWORD dst_unused:UNUSED_PAD src0_sel:WORD_0 src1_sel:DWORD
	v_mov_b32_e32 v3, v7
	s_sub_i32 s7, 0, s3
	s_sub_i32 s4, s6, s4
	v_or_b32_e32 v16, 0xc0, v0
	s_lshl_b32 s11, s4, 3
	v_mul_f32_e32 v1, 0x4f7ffffe, v1
	s_mul_i32 s4, s11, s2
	v_or_b32_e32 v18, 0x100, v0
	v_mov_b32_e32 v65, 0
	v_or_b32_e32 v27, 0x180, v0
	v_cvt_u32_f32_e32 v9, v1
	v_lshrrev_b32_e32 v1, 16, v2
	v_lshrrev_b32_e32 v2, 16, v8
	v_mad_u64_u32 v[7:8], null, s1, v0, v[3:4]
	v_readfirstlane_b32 s13, v9
	v_mul_lo_u16 v3, 0x70, v1
	v_mul_lo_u16 v8, 0x70, v2
	s_waitcnt lgkmcnt(0)
	s_mul_hi_u32 s24, s20, s10
	s_mul_i32 s12, s20, s10
	s_mul_i32 s7, s7, s13
	v_sub_nc_u16 v3, v4, v3
	s_mul_hi_u32 s7, s13, s7
	v_sub_nc_u16 v4, v5, v8
	s_add_i32 s13, s13, s7
	s_mul_i32 s21, s21, s10
	v_and_b32_e32 v10, 0xffff, v3
	s_mul_hi_u32 s7, s6, s13
	s_add_i32 s13, s24, s21
	s_mul_i32 s20, s7, s3
	v_and_b32_e32 v14, 0xffff, v4
	v_mad_u64_u32 v[8:9], null, s0, v10, 0
	s_sub_i32 s6, s6, s20
	s_add_i32 s20, s7, 1
	s_sub_i32 s21, s6, s3
	s_cmp_ge_u32 s6, s3
	v_lshlrev_b64 v[12:13], 4, v[6:7]
	s_cselect_b32 s7, s20, s7
	v_mov_b32_e32 v5, v9
	s_cselect_b32 s6, s21, s6
	s_add_i32 s20, s7, 1
	s_cmp_ge_u32 s6, s3
	v_mul_lo_u32 v64, s2, v1
	v_mad_u64_u32 v[9:10], null, s1, v10, v[5:6]
	v_mul_u32_u24_sdwa v5, v16, v25 dst_sel:DWORD dst_unused:UNUSED_PAD src0_sel:WORD_0 src1_sel:DWORD
	v_mad_u64_u32 v[10:11], null, s0, v14, 0
	s_cselect_b32 s33, s20, s7
	v_mul_u32_u24_sdwa v19, v18, v25 dst_sel:DWORD dst_unused:UNUSED_PAD src0_sel:WORD_0 src1_sel:DWORD
	v_lshrrev_b32_e32 v5, 16, v5
	s_mul_i32 s3, s23, s33
	s_mul_hi_u32 s7, s22, s33
	s_mul_i32 s6, s22, s33
	s_add_i32 s7, s7, s3
	v_lshlrev_b64 v[7:8], 4, v[8:9]
	v_mov_b32_e32 v6, v11
	s_lshl_b64 s[6:7], s[6:7], 4
	v_mul_lo_u16 v11, 0x70, v5
	s_add_u32 s3, s16, s6
	s_addc_u32 s16, s17, s7
	s_lshl_b64 s[6:7], s[12:13], 4
	v_mad_u64_u32 v[14:15], null, s1, v14, v[6:7]
	s_add_u32 s3, s3, s6
	v_sub_nc_u16 v6, v16, v11
	s_addc_u32 s6, s16, s7
	s_lshl_b64 s[4:5], s[4:5], 4
	v_lshlrev_b64 v[15:16], 4, v[64:65]
	s_add_u32 s3, s3, s4
	s_addc_u32 s4, s6, s5
	v_add_co_u32 v12, vcc_lo, s3, v12
	v_and_b32_e32 v17, 0xffff, v6
	v_add_co_ci_u32_e32 v13, vcc_lo, s4, v13, vcc_lo
	v_mov_b32_e32 v11, v14
	v_add_co_u32 v20, vcc_lo, s3, v7
	v_add_co_ci_u32_e32 v21, vcc_lo, s4, v8, vcc_lo
	v_mad_u64_u32 v[8:9], null, s0, v17, 0
	v_lshrrev_b32_e32 v7, 16, v19
	v_lshlrev_b64 v[10:11], 4, v[10:11]
	v_add_co_u32 v14, vcc_lo, v20, v15
	v_or_b32_e32 v20, 0x140, v0
	v_mul_lo_u16 v19, 0x70, v7
	v_add_co_ci_u32_e32 v15, vcc_lo, v21, v16, vcc_lo
	v_mad_u64_u32 v[16:17], null, s1, v17, v[9:10]
	v_mul_lo_u32 v64, s2, v2
	v_mul_u32_u24_sdwa v9, v20, v25 dst_sel:DWORD dst_unused:UNUSED_PAD src0_sel:WORD_0 src1_sel:DWORD
	v_sub_nc_u16 v76, v18, v19
	v_add_co_u32 v18, vcc_lo, s3, v10
	v_add_co_ci_u32_e32 v19, vcc_lo, s4, v11, vcc_lo
	v_lshrrev_b32_e32 v77, 16, v9
	v_mov_b32_e32 v9, v16
	v_and_b32_e32 v21, 0xffff, v76
	v_lshlrev_b64 v[10:11], 4, v[64:65]
	v_mul_lo_u32 v64, s2, v5
	v_mul_lo_u16 v22, 0x70, v77
	v_lshlrev_b64 v[8:9], 4, v[8:9]
	v_mad_u64_u32 v[16:17], null, s0, v21, 0
	v_add_co_u32 v18, vcc_lo, v18, v10
	v_add_co_ci_u32_e32 v19, vcc_lo, v19, v11, vcc_lo
	v_add_co_u32 v11, vcc_lo, s3, v8
	v_add_co_ci_u32_e32 v24, vcc_lo, s4, v9, vcc_lo
	v_lshlrev_b64 v[9:10], 4, v[64:65]
	v_mov_b32_e32 v8, v17
	v_sub_nc_u16 v78, v20, v22
	v_or_b32_e32 v28, 0x1c0, v0
	v_mul_lo_u32 v64, s2, v7
	v_or_b32_e32 v30, 0x200, v0
	v_mad_u64_u32 v[20:21], null, s1, v21, v[8:9]
	v_mul_u32_u24_sdwa v8, v27, v25 dst_sel:DWORD dst_unused:UNUSED_PAD src0_sel:WORD_0 src1_sel:DWORD
	v_and_b32_e32 v26, 0xffff, v78
	v_add_co_u32 v23, vcc_lo, v11, v9
	v_add_co_ci_u32_e32 v24, vcc_lo, v24, v10, vcc_lo
	v_lshrrev_b32_e32 v79, 16, v8
	v_mad_u64_u32 v[21:22], null, s0, v26, 0
	v_mov_b32_e32 v17, v20
	v_mul_u32_u24_sdwa v20, v28, v25 dst_sel:DWORD dst_unused:UNUSED_PAD src0_sel:WORD_0 src1_sel:DWORD
	v_mul_lo_u16 v11, 0x70, v79
	v_mov_b32_e32 v31, 0x493
	v_or_b32_e32 v33, 0x300, v0
	v_lshlrev_b64 v[9:10], 4, v[16:17]
	v_mov_b32_e32 v8, v22
	v_sub_nc_u16 v80, v27, v11
	v_lshrrev_b32_e32 v81, 16, v20
	v_mul_u32_u24_sdwa v34, v33, v31 dst_sel:DWORD dst_unused:UNUSED_PAD src0_sel:WORD_0 src1_sel:DWORD
	v_lshrrev_b32_e32 v66, 3, v0
	v_mad_u64_u32 v[16:17], null, s1, v26, v[8:9]
	v_and_b32_e32 v27, 0xffff, v80
	v_add_co_u32 v17, vcc_lo, s3, v9
	v_mul_lo_u16 v25, 0x70, v81
	v_add_co_ci_u32_e32 v20, vcc_lo, s4, v10, vcc_lo
	v_lshlrev_b64 v[8:9], 4, v[64:65]
	v_mad_u64_u32 v[10:11], null, s0, v27, 0
	v_mov_b32_e32 v22, v16
	v_sub_nc_u16 v82, v28, v25
	v_mul_lo_u32 v64, s2, v77
	v_add_co_u32 v25, vcc_lo, v17, v8
	v_add_co_ci_u32_e32 v26, vcc_lo, v20, v9, vcc_lo
	v_lshlrev_b64 v[8:9], 4, v[21:22]
	v_mad_u64_u32 v[20:21], null, s1, v27, v[11:12]
	v_and_b32_e32 v29, 0xffff, v82
	v_mul_u32_u24_sdwa v27, v30, v31 dst_sel:DWORD dst_unused:UNUSED_PAD src0_sel:WORD_0 src1_sel:DWORD
	v_lshlrev_b64 v[16:17], 4, v[64:65]
	v_add_co_u32 v8, vcc_lo, s3, v8
	v_mad_u64_u32 v[21:22], null, s0, v29, 0
	v_add_co_ci_u32_e32 v9, vcc_lo, s4, v9, vcc_lo
	v_mov_b32_e32 v11, v20
	v_lshrrev_b32_e32 v83, 17, v27
	v_add_co_u32 v27, vcc_lo, v8, v16
	v_add_co_ci_u32_e32 v28, vcc_lo, v9, v17, vcc_lo
	v_lshlrev_b64 v[9:10], 4, v[10:11]
	v_mov_b32_e32 v8, v22
	v_mul_lo_u16 v20, 0x70, v83
	v_mul_lo_u32 v64, s2, v79
	v_lshrrev_b32_e32 v91, 17, v34
	v_and_b32_e32 v67, 7, v0
	v_mad_u64_u32 v[16:17], null, s1, v29, v[8:9]
	v_sub_nc_u16 v84, v30, v20
	v_or_b32_e32 v30, 0x240, v0
	v_add_co_u32 v17, vcc_lo, s3, v9
	v_lshlrev_b64 v[8:9], 4, v[64:65]
	v_and_b32_e32 v29, 0xffff, v84
	v_mov_b32_e32 v22, v16
	v_mul_u32_u24_sdwa v16, v30, v31 dst_sel:DWORD dst_unused:UNUSED_PAD src0_sel:WORD_0 src1_sel:DWORD
	v_add_co_ci_u32_e32 v20, vcc_lo, s4, v10, vcc_lo
	v_mad_u64_u32 v[10:11], null, s0, v29, 0
	v_lshrrev_b32_e32 v85, 17, v16
	v_mul_lo_u32 v64, s2, v81
	v_add_co_u32 v38, vcc_lo, v17, v8
	v_add_co_ci_u32_e32 v39, vcc_lo, v20, v9, vcc_lo
	v_lshlrev_b64 v[8:9], 4, v[21:22]
	v_or_b32_e32 v22, 0x280, v0
	v_mad_u64_u32 v[20:21], null, s1, v29, v[11:12]
	v_mul_lo_u16 v11, 0x70, v85
	v_lshlrev_b64 v[16:17], 4, v[64:65]
	v_mul_u32_u24_sdwa v21, v22, v31 dst_sel:DWORD dst_unused:UNUSED_PAD src0_sel:WORD_0 src1_sel:DWORD
	v_add_co_u32 v8, vcc_lo, s3, v8
	v_sub_nc_u16 v86, v30, v11
	v_add_co_ci_u32_e32 v9, vcc_lo, s4, v9, vcc_lo
	v_lshrrev_b32_e32 v87, 17, v21
	v_add_co_u32 v42, vcc_lo, v8, v16
	v_mov_b32_e32 v11, v20
	v_and_b32_e32 v16, 0xffff, v86
	v_add_co_ci_u32_e32 v43, vcc_lo, v9, v17, vcc_lo
	v_mul_lo_u16 v17, 0x70, v87
	v_or_b32_e32 v29, 0x2c0, v0
	v_lshlrev_b64 v[8:9], 4, v[10:11]
	v_mad_u64_u32 v[10:11], null, s0, v16, 0
	v_sub_nc_u16 v88, v22, v17
	v_mul_u32_u24_sdwa v17, v29, v31 dst_sel:DWORD dst_unused:UNUSED_PAD src0_sel:WORD_0 src1_sel:DWORD
	v_mul_lo_u32 v64, s2, v83
	v_add_co_u32 v22, vcc_lo, s3, v8
	v_and_b32_e32 v32, 0xffff, v88
	v_lshrrev_b32_e32 v89, 17, v17
	v_mad_u64_u32 v[16:17], null, s1, v16, v[11:12]
	v_add_co_ci_u32_e32 v30, vcc_lo, s4, v9, vcc_lo
	v_lshlrev_b64 v[8:9], 4, v[64:65]
	v_mad_u64_u32 v[20:21], null, s0, v32, 0
	v_mul_lo_u16 v17, 0x70, v89
	v_mov_b32_e32 v11, v16
	v_mul_lo_u32 v64, s2, v85
	v_add_co_u32 v46, vcc_lo, v22, v8
	v_add_co_ci_u32_e32 v47, vcc_lo, v30, v9, vcc_lo
	v_lshlrev_b64 v[9:10], 4, v[10:11]
	v_mul_lo_u16 v11, 0x70, v91
	v_mov_b32_e32 v8, v21
	v_sub_nc_u16 v90, v29, v17
	v_lshlrev_b16 v3, 3, v3
	v_lshlrev_b16 v4, 3, v4
	v_sub_nc_u16 v92, v33, v11
	v_mad_u64_u32 v[16:17], null, s1, v32, v[8:9]
	v_and_b32_e32 v22, 0xffff, v90
	v_or_b32_e32 v32, 0x340, v0
	v_and_b32_e32 v34, 0xffff, v92
	v_add_co_u32 v11, vcc_lo, s3, v9
	v_mad_u64_u32 v[29:30], null, s0, v22, 0
	v_mov_b32_e32 v21, v16
	v_mad_u64_u32 v[16:17], null, s0, v34, 0
	v_mul_u32_u24_sdwa v31, v32, v31 dst_sel:DWORD dst_unused:UNUSED_PAD src0_sel:WORD_0 src1_sel:DWORD
	v_lshlrev_b64 v[8:9], 4, v[64:65]
	v_add_co_ci_u32_e32 v33, vcc_lo, s4, v10, vcc_lo
	v_mov_b32_e32 v10, v30
	v_lshrrev_b32_e32 v93, 17, v31
	v_mul_lo_u32 v64, s2, v87
	v_add_co_u32 v50, vcc_lo, v11, v8
	v_mov_b32_e32 v11, v17
	v_add_co_ci_u32_e32 v51, vcc_lo, v33, v9, vcc_lo
	v_lshlrev_b64 v[8:9], 4, v[20:21]
	v_mul_lo_u16 v17, 0x70, v93
	v_mad_u64_u32 v[20:21], null, s1, v22, v[10:11]
	v_mad_u64_u32 v[10:11], null, s1, v34, v[11:12]
	v_sub_nc_u16 v94, v32, v17
	v_add_co_u32 v21, vcc_lo, s3, v8
	v_add_co_ci_u32_e32 v22, vcc_lo, s4, v9, vcc_lo
	v_lshlrev_b64 v[8:9], 4, v[64:65]
	v_and_b32_e32 v31, 0xffff, v94
	v_mov_b32_e32 v30, v20
	v_mul_lo_u32 v64, s2, v89
	v_mov_b32_e32 v17, v10
	v_lshlrev_b16 v6, 3, v6
	v_add_co_u32 v54, vcc_lo, v21, v8
	v_mad_u64_u32 v[10:11], null, s0, v31, 0
	v_add_co_ci_u32_e32 v55, vcc_lo, v22, v9, vcc_lo
	v_lshlrev_b64 v[8:9], 4, v[29:30]
	v_lshlrev_b64 v[20:21], 4, v[64:65]
	v_mul_lo_u32 v64, s2, v91
	v_lshlrev_b64 v[16:17], 4, v[16:17]
	v_or_b32_e32 v1, v3, v1
	v_or_b32_e32 v2, v4, v2
	v_add_co_u32 v22, vcc_lo, s3, v8
	v_add_co_ci_u32_e32 v29, vcc_lo, s4, v9, vcc_lo
	v_mad_u64_u32 v[8:9], null, s1, v31, v[11:12]
	v_add_co_u32 v9, vcc_lo, s3, v16
	v_add_co_ci_u32_e32 v30, vcc_lo, s4, v17, vcc_lo
	v_lshlrev_b64 v[16:17], 4, v[64:65]
	v_add_co_u32 v58, vcc_lo, v22, v20
	v_mov_b32_e32 v11, v8
	v_add_co_ci_u32_e32 v59, vcc_lo, v29, v21, vcc_lo
	v_mul_lo_u32 v64, s2, v93
	v_add_co_u32 v62, vcc_lo, v9, v16
	v_add_co_ci_u32_e32 v63, vcc_lo, v30, v17, vcc_lo
	v_lshlrev_b64 v[29:30], 4, v[10:11]
	s_clause 0x3
	global_load_dwordx4 v[8:11], v[12:13], off
	global_load_dwordx4 v[12:15], v[14:15], off
	global_load_dwordx4 v[16:19], v[18:19], off
	global_load_dwordx4 v[20:23], v[23:24], off
	v_or_b32_e32 v3, v6, v5
	v_lshlrev_b64 v[48:49], 4, v[64:65]
	v_lshlrev_b16 v64, 3, v86
	v_and_b32_e32 v1, 0xffff, v1
	v_add_co_u32 v24, vcc_lo, s3, v29
	v_add_co_ci_u32_e32 v29, vcc_lo, s4, v30, vcc_lo
	s_clause 0x3
	global_load_dwordx4 v[30:33], v[25:26], off
	global_load_dwordx4 v[34:37], v[27:28], off
	;; [unrolled: 1-line block ×4, first 2 shown]
	v_add_co_u32 v24, vcc_lo, v24, v48
	v_add_co_ci_u32_e32 v25, vcc_lo, v29, v49, vcc_lo
	s_clause 0x5
	global_load_dwordx4 v[46:49], v[46:47], off
	global_load_dwordx4 v[50:53], v[50:51], off
	;; [unrolled: 1-line block ×6, first 2 shown]
	v_lshlrev_b32_e32 v24, 7, v66
	v_lshlrev_b32_e32 v25, 4, v67
	v_lshlrev_b16 v27, 3, v78
	v_lshlrev_b16 v28, 3, v80
	;; [unrolled: 1-line block ×4, first 2 shown]
	v_add3_u32 v29, 0, v24, v25
	v_lshlrev_b16 v24, 3, v76
	v_lshlrev_b16 v76, 3, v88
	;; [unrolled: 1-line block ×5, first 2 shown]
	v_or_b32_e32 v4, v24, v7
	v_or_b32_e32 v5, v27, v77
	;; [unrolled: 1-line block ×10, first 2 shown]
	v_and_b32_e32 v2, 0xffff, v2
	v_and_b32_e32 v3, 0xffff, v3
	;; [unrolled: 1-line block ×7, first 2 shown]
	v_lshl_add_u32 v26, v0, 7, 0
	v_and_b32_e32 v27, 0xffff, v27
	v_and_b32_e32 v28, 0xffff, v28
	;; [unrolled: 1-line block ×5, first 2 shown]
	v_lshl_add_u32 v1, v1, 4, 0
	v_lshl_add_u32 v2, v2, 4, 0
	;; [unrolled: 1-line block ×8, first 2 shown]
	s_load_dwordx8 s[0:7], s[14:15], 0x0
	v_lshl_add_u32 v27, v27, 4, 0
	v_lshl_add_u32 v28, v28, 4, 0
	;; [unrolled: 1-line block ×5, first 2 shown]
	s_mov_b32 s24, 0xe976ee23
	s_mov_b32 s25, 0xbfe11646
	;; [unrolled: 1-line block ×20, first 2 shown]
	v_mov_b32_e32 v111, 14
	v_cmp_gt_u32_e32 vcc_lo, 48, v0
	s_waitcnt vmcnt(13)
	ds_write_b128 v26, v[8:11]
	s_waitcnt vmcnt(12)
	ds_write_b128 v1, v[12:15]
	;; [unrolled: 2-line block ×14, first 2 shown]
	s_waitcnt lgkmcnt(0)
	s_barrier
	buffer_gl0_inv
	ds_read_b128 v[1:4], v29 offset:12288
	ds_read_b128 v[5:8], v29 offset:2048
	ds_read_b128 v[9:12], v29 offset:4096
	ds_read_b128 v[13:16], v29 offset:10240
	ds_read_b128 v[17:20], v29 offset:8192
	ds_read_b128 v[21:24], v29 offset:6144
	ds_read_b128 v[30:33], v29 offset:3072
	ds_read_b128 v[34:37], v29 offset:5120
	ds_read_b128 v[38:41], v29 offset:7168
	ds_read_b128 v[42:45], v29 offset:13312
	ds_read_b128 v[46:49], v29 offset:11264
	ds_read_b128 v[50:53], v29 offset:9216
	s_waitcnt lgkmcnt(10)
	v_add_f64 v[26:27], v[5:6], v[1:2]
	v_add_f64 v[54:55], v[7:8], v[3:4]
	s_waitcnt lgkmcnt(8)
	v_add_f64 v[56:57], v[9:10], v[13:14]
	v_add_f64 v[58:59], v[11:12], v[15:16]
	v_add_f64 v[9:10], v[9:10], -v[13:14]
	v_add_f64 v[11:12], v[11:12], -v[15:16]
	s_waitcnt lgkmcnt(6)
	v_add_f64 v[13:14], v[17:18], -v[21:22]
	v_add_f64 v[15:16], v[19:20], -v[23:24]
	v_add_f64 v[17:18], v[21:22], v[17:18]
	s_waitcnt lgkmcnt(2)
	v_add_f64 v[21:22], v[30:31], v[42:43]
	v_add_f64 v[60:61], v[32:33], v[44:45]
	s_waitcnt lgkmcnt(1)
	v_add_f64 v[62:63], v[34:35], v[46:47]
	v_add_f64 v[68:69], v[36:37], v[48:49]
	v_add_f64 v[19:20], v[23:24], v[19:20]
	v_add_f64 v[23:24], v[5:6], -v[1:2]
	v_add_f64 v[70:71], v[7:8], -v[3:4]
	;; [unrolled: 1-line block ×5, first 2 shown]
	s_waitcnt lgkmcnt(0)
	v_add_f64 v[42:43], v[38:39], v[50:51]
	v_add_f64 v[44:45], v[40:41], v[52:53]
	v_add_f64 v[36:37], v[36:37], -v[48:49]
	v_add_f64 v[38:39], v[50:51], -v[38:39]
	ds_read_b128 v[1:4], v29
	ds_read_b128 v[5:8], v29 offset:1024
	v_add_f64 v[72:73], v[56:57], v[26:27]
	v_add_f64 v[74:75], v[58:59], v[54:55]
	v_add_f64 v[40:41], v[52:53], -v[40:41]
	v_add_f64 v[48:49], v[56:57], -v[26:27]
	;; [unrolled: 1-line block ×5, first 2 shown]
	v_add_f64 v[86:87], v[13:14], v[9:10]
	v_add_f64 v[88:89], v[15:16], v[11:12]
	v_add_f64 v[46:47], v[62:63], v[21:22]
	v_add_f64 v[80:81], v[68:69], v[60:61]
	v_add_f64 v[84:85], v[19:20], -v[58:59]
	v_add_f64 v[90:91], v[9:10], -v[23:24]
	;; [unrolled: 1-line block ×7, first 2 shown]
	s_waitcnt lgkmcnt(0)
	s_barrier
	v_add_f64 v[94:95], v[38:39], -v[34:35]
	v_add_f64 v[96:97], v[38:39], v[34:35]
	v_add_f64 v[72:73], v[17:18], v[72:73]
	;; [unrolled: 1-line block ×3, first 2 shown]
	v_add_f64 v[17:18], v[26:27], -v[17:18]
	v_add_f64 v[19:20], v[54:55], -v[19:20]
	v_mul_f64 v[76:77], v[76:77], s[24:25]
	v_mul_f64 v[78:79], v[78:79], s[24:25]
	v_add_f64 v[26:27], v[62:63], -v[21:22]
	v_add_f64 v[54:55], v[68:69], -v[60:61]
	v_add_f64 v[23:24], v[86:87], v[23:24]
	v_add_f64 v[46:47], v[42:43], v[46:47]
	;; [unrolled: 1-line block ×4, first 2 shown]
	v_mul_f64 v[62:63], v[82:83], s[14:15]
	v_mul_f64 v[70:71], v[84:85], s[14:15]
	v_add_f64 v[68:69], v[44:45], -v[68:69]
	v_add_f64 v[34:35], v[34:35], -v[30:31]
	;; [unrolled: 1-line block ×5, first 2 shown]
	v_mul_f64 v[60:61], v[90:91], s[16:17]
	v_add_f64 v[88:89], v[40:41], -v[36:37]
	v_add_f64 v[36:37], v[40:41], v[36:37]
	v_add_f64 v[9:10], v[1:2], v[72:73]
	;; [unrolled: 1-line block ×3, first 2 shown]
	v_mul_f64 v[17:18], v[17:18], s[34:35]
	v_mul_f64 v[19:20], v[19:20], s[34:35]
	v_fma_f64 v[80:81], v[90:91], s[16:17], -v[76:77]
	v_fma_f64 v[86:87], v[92:93], s[16:17], -v[78:79]
	v_mul_f64 v[90:91], v[92:93], s[16:17]
	v_mul_f64 v[92:93], v[52:53], s[14:15]
	;; [unrolled: 1-line block ×3, first 2 shown]
	v_add_f64 v[2:3], v[5:6], v[46:47]
	v_add_f64 v[4:5], v[7:8], v[56:57]
	v_add_f64 v[38:39], v[30:31], -v[38:39]
	v_fma_f64 v[6:7], v[48:49], s[22:23], -v[62:63]
	v_fma_f64 v[62:63], v[50:51], s[22:23], -v[70:71]
	v_add_f64 v[40:41], v[32:33], -v[40:41]
	v_mul_f64 v[100:101], v[34:35], s[16:17]
	v_mul_f64 v[21:22], v[21:22], s[34:35]
	v_mul_f64 v[42:43], v[42:43], s[34:35]
	v_mul_f64 v[98:99], v[44:45], s[16:17]
	v_fma_f64 v[60:61], v[13:14], s[30:31], -v[60:61]
	v_fma_f64 v[13:14], v[13:14], s[26:27], v[76:77]
	v_mul_f64 v[88:89], v[88:89], s[24:25]
	v_fma_f64 v[70:71], v[72:73], s[20:21], v[9:10]
	v_fma_f64 v[72:73], v[74:75], s[20:21], v[11:12]
	v_fma_f64 v[48:49], v[48:49], s[28:29], -v[17:18]
	v_fma_f64 v[50:51], v[50:51], s[28:29], -v[19:20]
	v_fma_f64 v[74:75], v[23:24], s[12:13], v[80:81]
	v_fma_f64 v[80:81], v[58:59], s[12:13], v[86:87]
	v_mul_f64 v[86:87], v[68:69], s[14:15]
	v_fma_f64 v[90:91], v[15:16], s[30:31], -v[90:91]
	v_fma_f64 v[15:16], v[15:16], s[26:27], v[78:79]
	v_fma_f64 v[17:18], v[82:83], s[14:15], v[17:18]
	;; [unrolled: 1-line block ×3, first 2 shown]
	v_add_f64 v[30:31], v[96:97], v[30:31]
	v_add_f64 v[32:33], v[36:37], v[32:33]
	v_fma_f64 v[36:37], v[26:27], s[22:23], -v[92:93]
	v_fma_f64 v[46:47], v[46:47], s[20:21], v[2:3]
	v_fma_f64 v[56:57], v[56:57], s[20:21], v[4:5]
	v_fma_f64 v[34:35], v[34:35], s[16:17], -v[94:95]
	v_fma_f64 v[26:27], v[26:27], s[28:29], -v[21:22]
	;; [unrolled: 1-line block ×4, first 2 shown]
	v_fma_f64 v[21:22], v[52:53], s[14:15], v[21:22]
	v_fma_f64 v[60:61], v[23:24], s[12:13], v[60:61]
	v_add_f64 v[6:7], v[6:7], v[70:71]
	v_add_f64 v[52:53], v[62:63], v[72:73]
	;; [unrolled: 1-line block ×4, first 2 shown]
	v_fma_f64 v[44:45], v[44:45], s[16:17], -v[88:89]
	v_fma_f64 v[40:41], v[40:41], s[26:27], v[88:89]
	v_fma_f64 v[76:77], v[54:55], s[22:23], -v[86:87]
	v_fma_f64 v[54:55], v[54:55], s[28:29], -v[42:43]
	v_fma_f64 v[42:43], v[68:69], s[14:15], v[42:43]
	v_fma_f64 v[62:63], v[58:59], s[12:13], v[90:91]
	v_fma_f64 v[68:69], v[23:24], s[12:13], v[13:14]
	v_fma_f64 v[58:59], v[58:59], s[12:13], v[15:16]
	v_add_f64 v[70:71], v[17:18], v[70:71]
	v_add_f64 v[72:73], v[19:20], v[72:73]
	v_fma_f64 v[38:39], v[38:39], s[26:27], v[94:95]
	v_add_f64 v[86:87], v[36:37], v[46:47]
	v_fma_f64 v[88:89], v[30:31], s[12:13], v[34:35]
	v_add_f64 v[26:27], v[26:27], v[46:47]
	v_mad_u32_u24 v1, 0x300, v66, v29
	buffer_gl0_inv
	v_add_f64 v[13:14], v[6:7], -v[80:81]
	v_add_f64 v[15:16], v[74:75], v[52:53]
	v_add_f64 v[17:18], v[6:7], v[80:81]
	v_add_f64 v[23:24], v[50:51], -v[60:61]
	v_fma_f64 v[84:85], v[32:33], s[12:13], v[44:45]
	v_fma_f64 v[94:95], v[32:33], s[12:13], v[40:41]
	v_add_f64 v[19:20], v[52:53], -v[74:75]
	v_add_f64 v[90:91], v[54:55], v[56:57]
	v_fma_f64 v[54:55], v[32:33], s[12:13], v[78:79]
	v_fma_f64 v[78:79], v[30:31], s[12:13], v[82:83]
	v_add_f64 v[82:83], v[21:22], v[46:47]
	v_add_f64 v[21:22], v[48:49], v[62:63]
	;; [unrolled: 1-line block ×3, first 2 shown]
	v_add_f64 v[36:37], v[72:73], -v[68:69]
	v_fma_f64 v[96:97], v[30:31], s[12:13], v[38:39]
	v_add_f64 v[30:31], v[48:49], -v[62:63]
	v_add_f64 v[32:33], v[60:61], v[50:51]
	v_add_f64 v[38:39], v[70:71], -v[58:59]
	v_add_f64 v[40:41], v[68:69], v[72:73]
	v_mul_lo_u16 v6, v66, 37
	v_add_f64 v[76:77], v[76:77], v[56:57]
	v_add_f64 v[92:93], v[42:43], v[56:57]
	ds_write_b128 v1, v[9:12]
	v_or_b32_e32 v68, 8, v66
	v_add_f64 v[42:43], v[86:87], -v[84:85]
	v_add_f64 v[46:47], v[86:87], v[84:85]
	v_mul_lo_u16 v7, v68, 37
	v_add_f64 v[50:51], v[26:27], v[54:55]
	v_add_f64 v[54:55], v[26:27], -v[54:55]
	v_or_b32_e32 v26, 32, v66
	v_or_b32_e32 v27, 40, v66
	v_lshrrev_b16 v28, 8, v7
	ds_write_b128 v1, v[34:37] offset:128
	ds_write_b128 v1, v[21:24] offset:256
	;; [unrolled: 1-line block ×3, first 2 shown]
	v_lshrrev_b16 v24, 8, v6
	ds_write_b128 v1, v[17:20] offset:512
	ds_write_b128 v1, v[30:33] offset:640
	;; [unrolled: 1-line block ×4, first 2 shown]
	v_or_b32_e32 v22, 16, v66
	v_mul_lo_u16 v2, v24, 7
	v_or_b32_e32 v23, 24, v66
	v_or_b32_e32 v30, 48, v66
	v_mul_lo_u16 v11, v26, 37
	v_add_f64 v[44:45], v[88:89], v[76:77]
	v_sub_nc_u16 v2, v66, v2
	v_mul_lo_u16 v10, v23, 37
	v_add_f64 v[48:49], v[76:77], -v[88:89]
	v_add_f64 v[58:59], v[82:83], v[94:95]
	v_add_f64 v[60:61], v[92:93], -v[96:97]
	v_and_b32_e32 v99, 0xff, v2
	v_mul_lo_u16 v2, v22, 37
	v_add_f64 v[69:70], v[82:83], -v[94:95]
	v_add_f64 v[71:72], v[96:97], v[92:93]
	v_add_f64 v[52:53], v[90:91], -v[78:79]
	v_add_f64 v[56:57], v[78:79], v[90:91]
	v_lshrrev_b16 v101, 8, v2
	v_mul_lo_u16 v12, v27, 37
	v_lshrrev_b16 v102, 8, v10
	v_mul_lo_u16 v10, v30, 37
	v_mul_lo_u16 v3, v28, 7
	v_lshrrev_b16 v103, 8, v11
	v_mul_lo_u16 v11, v101, 7
	v_lshrrev_b16 v104, 8, v12
	;; [unrolled: 2-line block ×3, first 2 shown]
	v_sub_nc_u16 v3, v68, v3
	v_mul_lo_u16 v10, v103, 7
	v_sub_nc_u16 v11, v22, v11
	v_mul_lo_u16 v13, v104, 7
	;; [unrolled: 2-line block ×3, first 2 shown]
	v_and_b32_e32 v100, 0xff, v3
	v_sub_nc_u16 v10, v26, v10
	v_and_b32_e32 v106, 0xff, v11
	v_sub_nc_u16 v11, v27, v13
	v_and_b32_e32 v107, 0xff, v12
	v_lshlrev_b32_e32 v3, 4, v99
	v_sub_nc_u16 v12, v30, v14
	v_lshlrev_b32_e32 v6, 4, v100
	v_and_b32_e32 v108, 0xff, v10
	v_lshlrev_b32_e32 v10, 4, v106
	v_and_b32_e32 v109, 0xff, v11
	v_lshlrev_b32_e32 v14, 4, v107
	ds_write_b128 v1, v[58:61] offset:7296
	ds_write_b128 v1, v[50:53] offset:7424
	;; [unrolled: 1-line block ×6, first 2 shown]
	s_waitcnt lgkmcnt(0)
	s_barrier
	buffer_gl0_inv
	s_clause 0x1
	global_load_dwordx4 v[2:5], v3, s[8:9]
	global_load_dwordx4 v[6:9], v6, s[8:9]
	v_and_b32_e32 v110, 0xff, v12
	s_clause 0x1
	global_load_dwordx4 v[10:13], v10, s[8:9]
	global_load_dwordx4 v[14:17], v14, s[8:9]
	v_lshlrev_b32_e32 v18, 4, v108
	v_lshlrev_b32_e32 v31, 4, v109
	;; [unrolled: 1-line block ×3, first 2 shown]
	s_clause 0x2
	global_load_dwordx4 v[18:21], v18, s[8:9]
	global_load_dwordx4 v[31:34], v31, s[8:9]
	;; [unrolled: 1-line block ×3, first 2 shown]
	ds_read_b128 v[39:42], v29 offset:7168
	ds_read_b128 v[43:46], v29 offset:8192
	;; [unrolled: 1-line block ×5, first 2 shown]
	ds_read_b128 v[73:76], v29
	ds_read_b128 v[59:62], v29 offset:12288
	ds_read_b128 v[69:72], v29 offset:13312
	v_lshlrev_b32_e32 v78, 7, v26
	v_lshlrev_b32_e32 v79, 7, v27
	;; [unrolled: 1-line block ×4, first 2 shown]
	v_mul_i32_i24_e32 v77, 0xfffffd00, v68
	v_lshlrev_b32_e32 v30, 7, v30
	v_add3_u32 v78, 0, v78, v25
	v_add3_u32 v81, 0, v22, v25
	v_add3_u32 v22, 0, v23, v25
	v_add3_u32 v112, 0, v79, v25
	v_add3_u32 v113, 0, v30, v25
	v_add3_u32 v30, 0x1c00, v1, v77
	s_waitcnt vmcnt(6) lgkmcnt(7)
	v_mul_f64 v[26:27], v[41:42], v[4:5]
	v_mul_f64 v[4:5], v[39:40], v[4:5]
	s_waitcnt vmcnt(5) lgkmcnt(6)
	v_mul_f64 v[63:64], v[45:46], v[8:9]
	v_mul_f64 v[8:9], v[43:44], v[8:9]
	;; [unrolled: 3-line block ×7, first 2 shown]
	ds_read_b128 v[20:23], v22
	ds_read_b128 v[77:80], v78
	v_fma_f64 v[26:27], v[39:40], v[2:3], -v[26:27]
	v_fma_f64 v[1:2], v[41:42], v[2:3], v[4:5]
	v_fma_f64 v[3:4], v[43:44], v[6:7], -v[63:64]
	v_fma_f64 v[5:6], v[45:46], v[6:7], v[8:9]
	ds_read_b128 v[37:40], v81
	ds_read_b128 v[81:84], v30
	v_fma_f64 v[7:8], v[47:48], v[10:11], -v[85:86]
	v_fma_f64 v[9:10], v[49:50], v[10:11], v[12:13]
	v_fma_f64 v[11:12], v[51:52], v[14:15], -v[87:88]
	v_fma_f64 v[63:64], v[53:54], v[14:15], v[16:17]
	;; [unrolled: 2-line block ×4, first 2 shown]
	v_fma_f64 v[61:62], v[69:70], v[35:36], -v[95:96]
	ds_read_b128 v[13:16], v112
	ds_read_b128 v[31:34], v113
	v_fma_f64 v[35:36], v[71:72], v[35:36], v[97:98]
	v_mul_u32_u24_sdwa v19, v24, v111 dst_sel:DWORD dst_unused:UNUSED_PAD src0_sel:WORD_0 src1_sel:DWORD
	v_mul_u32_u24_sdwa v69, v102, v111 dst_sel:DWORD dst_unused:UNUSED_PAD src0_sel:WORD_0 src1_sel:DWORD
	;; [unrolled: 1-line block ×5, first 2 shown]
	v_add_f64 v[41:42], v[73:74], -v[26:27]
	v_add_f64 v[43:44], v[75:76], -v[1:2]
	s_waitcnt lgkmcnt(2)
	v_add_f64 v[45:46], v[81:82], -v[3:4]
	v_add_f64 v[47:48], v[83:84], -v[5:6]
	v_add_lshl_u32 v19, v19, v99, 7
	v_add_f64 v[49:50], v[37:38], -v[7:8]
	v_add_f64 v[51:52], v[39:40], -v[9:10]
	v_add_f64 v[53:54], v[20:21], -v[11:12]
	v_add_f64 v[55:56], v[22:23], -v[63:64]
	v_add_f64 v[1:2], v[77:78], -v[85:86]
	v_add_f64 v[3:4], v[79:80], -v[17:18]
	v_mul_u32_u24_sdwa v17, v105, v111 dst_sel:DWORD dst_unused:UNUSED_PAD src0_sel:WORD_0 src1_sel:DWORD
	s_waitcnt lgkmcnt(1)
	v_add_f64 v[5:6], v[13:14], -v[57:58]
	v_add_f64 v[7:8], v[15:16], -v[59:60]
	s_waitcnt lgkmcnt(0)
	v_add_f64 v[9:10], v[31:32], -v[61:62]
	v_add_lshl_u32 v85, v69, v107, 7
	v_add_f64 v[11:12], v[33:34], -v[35:36]
	v_add_lshl_u32 v86, v70, v108, 7
	v_add_lshl_u32 v87, v71, v109, 7
	v_add3_u32 v26, 0, v19, v25
	v_add_lshl_u32 v88, v17, v110, 7
	v_mul_u32_u24_sdwa v28, v101, v111 dst_sel:DWORD dst_unused:UNUSED_PAD src0_sel:WORD_0 src1_sel:DWORD
	v_fma_f64 v[57:58], v[73:74], 2.0, -v[41:42]
	v_fma_f64 v[59:60], v[75:76], 2.0, -v[43:44]
	;; [unrolled: 1-line block ×4, first 2 shown]
	v_add_lshl_u32 v27, v24, v100, 7
	v_fma_f64 v[35:36], v[37:38], 2.0, -v[49:50]
	v_fma_f64 v[37:38], v[39:40], 2.0, -v[51:52]
	;; [unrolled: 1-line block ×6, first 2 shown]
	v_add_lshl_u32 v28, v28, v106, 7
	v_fma_f64 v[13:14], v[13:14], 2.0, -v[5:6]
	v_fma_f64 v[15:16], v[15:16], 2.0, -v[7:8]
	;; [unrolled: 1-line block ×3, first 2 shown]
	v_add3_u32 v27, 0, v27, v25
	v_fma_f64 v[23:24], v[33:34], 2.0, -v[11:12]
	v_add3_u32 v28, 0, v28, v25
	v_add3_u32 v33, 0, v87, v25
	;; [unrolled: 1-line block ×5, first 2 shown]
	s_barrier
	buffer_gl0_inv
	ds_write_b128 v26, v[41:44] offset:896
	ds_write_b128 v26, v[57:60]
	ds_write_b128 v27, v[61:64]
	ds_write_b128 v27, v[45:48] offset:896
	ds_write_b128 v28, v[35:38]
	ds_write_b128 v28, v[49:52] offset:896
	;; [unrolled: 2-line block ×6, first 2 shown]
	s_waitcnt lgkmcnt(0)
	s_barrier
	buffer_gl0_inv
	ds_read_b128 v[33:36], v29
	ds_read_b128 v[61:64], v29 offset:1792
	ds_read_b128 v[49:52], v29 offset:3584
	;; [unrolled: 1-line block ×7, first 2 shown]
                                        ; implicit-def: $vgpr27_vgpr28
                                        ; implicit-def: $vgpr31_vgpr32
	s_and_saveexec_b32 s3, vcc_lo
	s_cbranch_execz .LBB0_4
; %bb.3:
	ds_read_b128 v[1:4], v29 offset:2816
	ds_read_b128 v[13:16], v29 offset:4608
	;; [unrolled: 1-line block ×6, first 2 shown]
	ds_read_b128 v[17:20], v30
	ds_read_b128 v[29:32], v29 offset:13568
.LBB0_4:
	s_or_b32 exec_lo, exec_lo, s3
	v_mul_u32_u24_e32 v69, 7, v66
	s_mul_i32 s13, s5, s10
	s_mul_hi_u32 s15, s4, s10
	s_mul_i32 s14, s4, s10
	s_mul_hi_u32 s17, s6, s33
	v_lshlrev_b32_e32 v93, 4, v69
	s_mul_i32 s10, s6, s33
	s_mul_i32 s6, s1, s11
	s_mul_hi_u32 s20, s0, s11
	s_mov_b32 s4, 0x667f3bcd
	s_clause 0x6
	global_load_dwordx4 v[69:72], v93, s[8:9] offset:112
	global_load_dwordx4 v[73:76], v93, s[8:9] offset:128
	;; [unrolled: 1-line block ×7, first 2 shown]
	s_mul_i32 s16, s7, s33
	s_mov_b32 s5, 0xbfe6a09e
	s_mov_b32 s7, 0x3fe6a09e
	s_add_i32 s15, s15, s13
	s_add_i32 s13, s20, s6
	s_mov_b32 s6, s4
	v_sub_nc_u32_e32 v0, v0, v0
	s_mul_i32 s3, s2, 14
	s_lshl_b64 s[14:15], s[14:15], 4
	s_mul_i32 s12, s0, s11
	s_add_i32 s11, s17, s16
	s_add_u32 s14, s18, s14
	s_addc_u32 s15, s19, s15
	s_waitcnt vmcnt(6) lgkmcnt(6)
	v_mul_f64 v[97:98], v[63:64], v[71:72]
	v_mul_f64 v[71:72], v[61:62], v[71:72]
	s_waitcnt vmcnt(5) lgkmcnt(5)
	v_mul_f64 v[99:100], v[51:52], v[75:76]
	v_mul_f64 v[75:76], v[49:50], v[75:76]
	s_waitcnt vmcnt(4) lgkmcnt(3)
	v_mul_f64 v[101:102], v[55:56], v[79:80]
	v_mul_f64 v[79:80], v[53:54], v[79:80]
	s_waitcnt vmcnt(3) lgkmcnt(1)
	v_mul_f64 v[103:104], v[59:60], v[83:84]
	v_mul_f64 v[83:84], v[57:58], v[83:84]
	s_waitcnt vmcnt(2)
	v_mul_f64 v[105:106], v[47:48], v[87:88]
	v_mul_f64 v[87:88], v[45:46], v[87:88]
	s_waitcnt vmcnt(1)
	v_mul_f64 v[107:108], v[39:40], v[91:92]
	v_mul_f64 v[91:92], v[37:38], v[91:92]
	s_waitcnt vmcnt(0) lgkmcnt(0)
	v_mul_f64 v[109:110], v[43:44], v[95:96]
	v_mul_f64 v[95:96], v[41:42], v[95:96]
	v_fma_f64 v[61:62], v[61:62], v[69:70], -v[97:98]
	v_fma_f64 v[63:64], v[63:64], v[69:70], v[71:72]
	v_fma_f64 v[49:50], v[49:50], v[73:74], -v[99:100]
	v_fma_f64 v[51:52], v[51:52], v[73:74], v[75:76]
	;; [unrolled: 2-line block ×7, first 2 shown]
	v_add_f64 v[53:54], v[33:34], -v[53:54]
	v_add_f64 v[55:56], v[35:36], -v[55:56]
	;; [unrolled: 1-line block ×8, first 2 shown]
	v_fma_f64 v[33:34], v[33:34], 2.0, -v[53:54]
	v_fma_f64 v[35:36], v[35:36], 2.0, -v[55:56]
	;; [unrolled: 1-line block ×6, first 2 shown]
	v_add_f64 v[59:60], v[53:54], -v[59:60]
	v_add_f64 v[73:74], v[55:56], v[57:58]
	v_fma_f64 v[37:38], v[37:38], 2.0, -v[41:42]
	v_fma_f64 v[39:40], v[39:40], 2.0, -v[43:44]
	v_add_f64 v[43:44], v[45:46], -v[43:44]
	v_add_f64 v[41:42], v[47:48], v[41:42]
	v_mad_u64_u32 v[57:58], null, s0, v67, 0
	v_add_nc_u32_e32 v63, v0, v66
	v_mul_lo_u32 v64, v63, s2
	v_mov_b32_e32 v0, v58
	v_add_f64 v[71:72], v[33:34], -v[49:50]
	v_add_f64 v[75:76], v[35:36], -v[51:52]
	v_mad_u64_u32 v[51:52], null, s1, v67, v[0:1]
	v_fma_f64 v[77:78], v[53:54], 2.0, -v[59:60]
	v_fma_f64 v[79:80], v[55:56], 2.0, -v[73:74]
	v_add_f64 v[37:38], v[61:62], -v[37:38]
	v_add_f64 v[39:40], v[69:70], -v[39:40]
	v_fma_f64 v[49:50], v[45:46], 2.0, -v[43:44]
	v_fma_f64 v[46:47], v[47:48], 2.0, -v[41:42]
	v_fma_f64 v[81:82], v[43:44], s[6:7], v[59:60]
	v_fma_f64 v[83:84], v[41:42], s[6:7], v[73:74]
	v_mov_b32_e32 v58, v51
	v_lshlrev_b64 v[52:53], 4, v[64:65]
	v_add_nc_u32_e32 v64, s3, v64
	s_lshl_b64 s[0:1], s[12:13], 4
	v_lshlrev_b64 v[56:57], 4, v[57:58]
	s_add_u32 s12, s14, s0
	s_addc_u32 s13, s15, s1
	s_lshl_b64 s[0:1], s[10:11], 4
	v_lshlrev_b64 v[54:55], 4, v[64:65]
	v_fma_f64 v[85:86], v[33:34], 2.0, -v[71:72]
	v_fma_f64 v[87:88], v[35:36], 2.0, -v[75:76]
	v_add_nc_u32_e32 v64, s3, v64
	s_add_u32 s0, s0, s12
	s_addc_u32 s1, s1, s13
	v_add_co_u32 v0, s0, s0, v56
	v_fma_f64 v[61:62], v[61:62], 2.0, -v[37:38]
	v_fma_f64 v[69:70], v[69:70], 2.0, -v[39:40]
	v_fma_f64 v[89:90], v[49:50], s[4:5], v[77:78]
	v_fma_f64 v[91:92], v[46:47], s[4:5], v[79:80]
	v_add_f64 v[34:35], v[71:72], -v[39:40]
	v_add_f64 v[36:37], v[75:76], v[37:38]
	v_fma_f64 v[38:39], v[41:42], s[4:5], v[81:82]
	v_fma_f64 v[40:41], v[43:44], s[6:7], v[83:84]
	v_lshlrev_b64 v[93:94], 4, v[64:65]
	v_add_nc_u32_e32 v64, s3, v64
	v_add_co_ci_u32_e64 v33, s0, s1, v57, s0
	v_add_co_u32 v95, s0, v0, v52
	v_lshlrev_b64 v[56:57], 4, v[64:65]
	v_add_nc_u32_e32 v64, s3, v64
	v_add_co_ci_u32_e64 v96, s0, v33, v53, s0
	v_lshlrev_b64 v[83:84], 4, v[64:65]
	v_add_nc_u32_e32 v64, s3, v64
	v_add_f64 v[42:43], v[85:86], -v[61:62]
	v_add_f64 v[44:45], v[87:88], -v[69:70]
	v_fma_f64 v[46:47], v[46:47], s[4:5], v[89:90]
	v_fma_f64 v[48:49], v[49:50], s[6:7], v[91:92]
	v_add_co_u32 v62, s0, v0, v54
	v_add_co_ci_u32_e64 v63, s0, v33, v55, s0
	v_add_co_u32 v81, s0, v0, v93
	v_add_co_ci_u32_e64 v82, s0, v33, v94, s0
	v_fma_f64 v[54:55], v[59:60], 2.0, -v[38:39]
	v_add_co_u32 v89, s0, v0, v56
	v_fma_f64 v[50:51], v[71:72], 2.0, -v[34:35]
	v_fma_f64 v[52:53], v[75:76], 2.0, -v[36:37]
	v_add_co_ci_u32_e64 v90, s0, v33, v57, s0
	v_fma_f64 v[56:57], v[73:74], 2.0, -v[40:41]
	v_lshlrev_b64 v[91:92], 4, v[64:65]
	v_add_nc_u32_e32 v64, s3, v64
	v_fma_f64 v[58:59], v[85:86], 2.0, -v[42:43]
	v_fma_f64 v[60:61], v[87:88], 2.0, -v[44:45]
	;; [unrolled: 1-line block ×4, first 2 shown]
	v_lshlrev_b64 v[75:76], 4, v[64:65]
	v_add_nc_u32_e32 v64, s3, v64
	v_add_co_u32 v73, s0, v0, v83
	v_add_co_ci_u32_e64 v74, s0, v33, v84, s0
	v_add_co_u32 v77, s0, v0, v91
	v_lshlrev_b64 v[64:65], 4, v[64:65]
	v_add_co_ci_u32_e64 v78, s0, v33, v92, s0
	v_add_co_u32 v75, s0, v0, v75
	v_add_co_ci_u32_e64 v76, s0, v33, v76, s0
	v_add_co_u32 v64, s0, v0, v64
	v_add_co_ci_u32_e64 v65, s0, v33, v65, s0
	global_store_dwordx4 v[95:96], v[58:61], off
	global_store_dwordx4 v[62:63], v[69:72], off
	;; [unrolled: 1-line block ×8, first 2 shown]
	s_and_saveexec_b32 s0, vcc_lo
	s_cbranch_execz .LBB0_6
; %bb.5:
	v_mul_lo_u16 v34, v68, 19
	v_mov_b32_e32 v35, 4
	v_lshrrev_b16 v34, 8, v34
	v_mul_lo_u16 v34, v34, 14
	v_sub_nc_u16 v34, v68, v34
	v_mul_lo_u16 v34, v34, 7
	v_lshlrev_b32_sdwa v58, v35, v34 dst_sel:DWORD dst_unused:UNUSED_PAD src0_sel:DWORD src1_sel:BYTE_0
	s_clause 0x6
	global_load_dwordx4 v[34:37], v58, s[8:9] offset:128
	global_load_dwordx4 v[38:41], v58, s[8:9] offset:192
	;; [unrolled: 1-line block ×7, first 2 shown]
	s_waitcnt vmcnt(6)
	v_mul_f64 v[62:63], v[15:16], v[36:37]
	s_waitcnt vmcnt(5)
	v_mul_f64 v[64:65], v[27:28], v[40:41]
	;; [unrolled: 2-line block ×4, first 2 shown]
	v_mul_f64 v[48:49], v[1:2], v[48:49]
	s_waitcnt vmcnt(2)
	v_mul_f64 v[73:74], v[9:10], v[52:53]
	s_waitcnt vmcnt(1)
	v_mul_f64 v[75:76], v[7:8], v[56:57]
	s_waitcnt vmcnt(0)
	v_mul_f64 v[77:78], v[31:32], v[60:61]
	v_mul_f64 v[36:37], v[13:14], v[36:37]
	;; [unrolled: 1-line block ×7, first 2 shown]
	v_fma_f64 v[13:14], v[13:14], v[34:35], -v[62:63]
	v_fma_f64 v[25:26], v[25:26], v[38:39], -v[64:65]
	v_fma_f64 v[23:24], v[23:24], v[42:43], v[69:70]
	v_fma_f64 v[1:2], v[1:2], v[46:47], -v[71:72]
	v_fma_f64 v[3:4], v[3:4], v[46:47], v[48:49]
	v_fma_f64 v[11:12], v[11:12], v[50:51], v[73:74]
	v_fma_f64 v[5:6], v[5:6], v[54:55], -v[75:76]
	v_fma_f64 v[29:30], v[29:30], v[58:59], -v[77:78]
	v_fma_f64 v[15:16], v[15:16], v[34:35], v[36:37]
	v_fma_f64 v[27:28], v[27:28], v[38:39], v[40:41]
	v_fma_f64 v[9:10], v[9:10], v[50:51], -v[52:53]
	v_fma_f64 v[21:22], v[21:22], v[42:43], -v[44:45]
	v_fma_f64 v[7:8], v[7:8], v[54:55], v[56:57]
	v_fma_f64 v[31:32], v[31:32], v[58:59], v[60:61]
	v_mul_lo_u32 v42, v68, s2
	v_mov_b32_e32 v43, 0
	v_add_f64 v[25:26], v[13:14], -v[25:26]
	v_add_f64 v[23:24], v[19:20], -v[23:24]
	;; [unrolled: 1-line block ×8, first 2 shown]
	v_fma_f64 v[13:14], v[13:14], 2.0, -v[25:26]
	v_add_f64 v[34:35], v[23:24], v[25:26]
	v_fma_f64 v[19:20], v[19:20], 2.0, -v[23:24]
	v_fma_f64 v[3:4], v[3:4], 2.0, -v[11:12]
	v_add_f64 v[36:37], v[11:12], v[29:30]
	v_fma_f64 v[5:6], v[5:6], 2.0, -v[29:30]
	v_fma_f64 v[15:16], v[15:16], 2.0, -v[27:28]
	;; [unrolled: 1-line block ×4, first 2 shown]
	v_add_f64 v[27:28], v[21:22], -v[27:28]
	v_fma_f64 v[7:8], v[7:8], 2.0, -v[31:32]
	v_add_f64 v[25:26], v[9:10], -v[31:32]
	v_fma_f64 v[31:32], v[23:24], 2.0, -v[34:35]
	v_fma_f64 v[23:24], v[11:12], 2.0, -v[36:37]
	v_lshlrev_b64 v[11:12], 4, v[42:43]
	v_add_f64 v[29:30], v[19:20], -v[15:16]
	v_add_f64 v[5:6], v[1:2], -v[5:6]
	;; [unrolled: 1-line block ×3, first 2 shown]
	v_fma_f64 v[21:22], v[21:22], 2.0, -v[27:28]
	v_add_f64 v[38:39], v[3:4], -v[7:8]
	v_fma_f64 v[9:10], v[9:10], 2.0, -v[25:26]
	v_add_nc_u32_e32 v13, 22, v66
	v_fma_f64 v[15:16], v[25:26], s[6:7], v[27:28]
	v_or_b32_e32 v7, 64, v66
	v_mov_b32_e32 v8, v43
	v_add_co_u32 v52, vcc_lo, v0, v11
	v_mul_lo_u32 v42, v13, s2
	v_fma_f64 v[13:14], v[36:37], s[6:7], v[34:35]
	v_mul_lo_u32 v7, v7, s2
	v_add_co_ci_u32_e32 v53, vcc_lo, v33, v12, vcc_lo
	v_lshlrev_b64 v[54:55], 4, v[42:43]
	v_fma_f64 v[44:45], v[23:24], s[4:5], v[31:32]
	v_fma_f64 v[46:47], v[19:20], 2.0, -v[29:30]
	v_add_nc_u32_e32 v42, s3, v42
	v_fma_f64 v[48:49], v[17:18], 2.0, -v[40:41]
	v_fma_f64 v[17:18], v[1:2], 2.0, -v[5:6]
	;; [unrolled: 1-line block ×3, first 2 shown]
	v_fma_f64 v[50:51], v[9:10], s[4:5], v[21:22]
	v_lshlrev_b64 v[1:2], 4, v[7:8]
	v_add_f64 v[7:8], v[29:30], v[5:6]
	v_add_f64 v[5:6], v[40:41], -v[38:39]
	v_lshlrev_b64 v[58:59], 4, v[42:43]
	v_add_nc_u32_e32 v42, s3, v42
	v_add_co_u32 v56, vcc_lo, v0, v1
	v_add_co_ci_u32_e32 v57, vcc_lo, v33, v2, vcc_lo
	v_fma_f64 v[3:4], v[25:26], s[6:7], v[13:14]
	v_fma_f64 v[1:2], v[36:37], s[4:5], v[15:16]
	v_lshlrev_b64 v[38:39], 4, v[42:43]
	v_add_co_u32 v36, vcc_lo, v0, v54
	v_fma_f64 v[11:12], v[9:10], s[6:7], v[44:45]
	v_add_co_ci_u32_e32 v37, vcc_lo, v33, v55, vcc_lo
	v_add_co_u32 v44, vcc_lo, v0, v58
	v_add_f64 v[15:16], v[46:47], -v[19:20]
	v_add_f64 v[13:14], v[48:49], -v[17:18]
	v_fma_f64 v[9:10], v[23:24], s[4:5], v[50:51]
	v_mad_u64_u32 v[17:18], null, s2, 28, v[42:43]
	v_mov_b32_e32 v18, v43
	v_fma_f64 v[23:24], v[29:30], 2.0, -v[7:8]
	v_add_co_ci_u32_e32 v45, vcc_lo, v33, v59, vcc_lo
	v_lshlrev_b64 v[50:51], 4, v[17:18]
	v_add_nc_u32_e32 v42, s3, v17
	v_fma_f64 v[17:18], v[27:28], 2.0, -v[1:2]
	v_fma_f64 v[19:20], v[34:35], 2.0, -v[3:4]
	v_add_co_u32 v34, vcc_lo, v0, v38
	v_fma_f64 v[27:28], v[31:32], 2.0, -v[11:12]
	v_add_co_ci_u32_e32 v35, vcc_lo, v33, v39, vcc_lo
	v_lshlrev_b64 v[38:39], 4, v[42:43]
	v_add_nc_u32_e32 v42, s3, v42
	v_fma_f64 v[31:32], v[46:47], 2.0, -v[15:16]
	v_fma_f64 v[29:30], v[48:49], 2.0, -v[13:14]
	v_fma_f64 v[25:26], v[21:22], 2.0, -v[9:10]
	v_fma_f64 v[21:22], v[40:41], 2.0, -v[5:6]
	v_add_co_u32 v40, vcc_lo, v0, v50
	v_lshlrev_b64 v[42:43], 4, v[42:43]
	v_add_co_ci_u32_e32 v41, vcc_lo, v33, v51, vcc_lo
	v_add_co_u32 v38, vcc_lo, v0, v38
	v_add_co_ci_u32_e32 v39, vcc_lo, v33, v39, vcc_lo
	v_add_co_u32 v42, vcc_lo, v0, v42
	v_add_co_ci_u32_e32 v43, vcc_lo, v33, v43, vcc_lo
	global_store_dwordx4 v[52:53], v[29:32], off
	global_store_dwordx4 v[36:37], v[25:28], off
	;; [unrolled: 1-line block ×8, first 2 shown]
.LBB0_6:
	s_endpgm
	.section	.rodata,"a",@progbits
	.p2align	6, 0x0
	.amdhsa_kernel fft_rtc_fwd_len112_factors_7_2_8_wgs_64_tpt_8_dim3_dp_op_CI_CI_sbrc_aligned_dirReg
		.amdhsa_group_segment_fixed_size 0
		.amdhsa_private_segment_fixed_size 0
		.amdhsa_kernarg_size 96
		.amdhsa_user_sgpr_count 6
		.amdhsa_user_sgpr_private_segment_buffer 1
		.amdhsa_user_sgpr_dispatch_ptr 0
		.amdhsa_user_sgpr_queue_ptr 0
		.amdhsa_user_sgpr_kernarg_segment_ptr 1
		.amdhsa_user_sgpr_dispatch_id 0
		.amdhsa_user_sgpr_flat_scratch_init 0
		.amdhsa_user_sgpr_private_segment_size 0
		.amdhsa_wavefront_size32 1
		.amdhsa_uses_dynamic_stack 0
		.amdhsa_system_sgpr_private_segment_wavefront_offset 0
		.amdhsa_system_sgpr_workgroup_id_x 1
		.amdhsa_system_sgpr_workgroup_id_y 0
		.amdhsa_system_sgpr_workgroup_id_z 0
		.amdhsa_system_sgpr_workgroup_info 0
		.amdhsa_system_vgpr_workitem_id 0
		.amdhsa_next_free_vgpr 114
		.amdhsa_next_free_sgpr 36
		.amdhsa_reserve_vcc 1
		.amdhsa_reserve_flat_scratch 0
		.amdhsa_float_round_mode_32 0
		.amdhsa_float_round_mode_16_64 0
		.amdhsa_float_denorm_mode_32 3
		.amdhsa_float_denorm_mode_16_64 3
		.amdhsa_dx10_clamp 1
		.amdhsa_ieee_mode 1
		.amdhsa_fp16_overflow 0
		.amdhsa_workgroup_processor_mode 1
		.amdhsa_memory_ordered 1
		.amdhsa_forward_progress 0
		.amdhsa_shared_vgpr_count 0
		.amdhsa_exception_fp_ieee_invalid_op 0
		.amdhsa_exception_fp_denorm_src 0
		.amdhsa_exception_fp_ieee_div_zero 0
		.amdhsa_exception_fp_ieee_overflow 0
		.amdhsa_exception_fp_ieee_underflow 0
		.amdhsa_exception_fp_ieee_inexact 0
		.amdhsa_exception_int_div_zero 0
	.end_amdhsa_kernel
	.text
.Lfunc_end0:
	.size	fft_rtc_fwd_len112_factors_7_2_8_wgs_64_tpt_8_dim3_dp_op_CI_CI_sbrc_aligned_dirReg, .Lfunc_end0-fft_rtc_fwd_len112_factors_7_2_8_wgs_64_tpt_8_dim3_dp_op_CI_CI_sbrc_aligned_dirReg
                                        ; -- End function
	.section	.AMDGPU.csdata,"",@progbits
; Kernel info:
; codeLenInByte = 8276
; NumSgprs: 38
; NumVgprs: 114
; ScratchSize: 0
; MemoryBound: 0
; FloatMode: 240
; IeeeMode: 1
; LDSByteSize: 0 bytes/workgroup (compile time only)
; SGPRBlocks: 4
; VGPRBlocks: 14
; NumSGPRsForWavesPerEU: 38
; NumVGPRsForWavesPerEU: 114
; Occupancy: 8
; WaveLimiterHint : 1
; COMPUTE_PGM_RSRC2:SCRATCH_EN: 0
; COMPUTE_PGM_RSRC2:USER_SGPR: 6
; COMPUTE_PGM_RSRC2:TRAP_HANDLER: 0
; COMPUTE_PGM_RSRC2:TGID_X_EN: 1
; COMPUTE_PGM_RSRC2:TGID_Y_EN: 0
; COMPUTE_PGM_RSRC2:TGID_Z_EN: 0
; COMPUTE_PGM_RSRC2:TIDIG_COMP_CNT: 0
	.text
	.p2alignl 6, 3214868480
	.fill 48, 4, 3214868480
	.type	__hip_cuid_a5448badf9c8f960,@object ; @__hip_cuid_a5448badf9c8f960
	.section	.bss,"aw",@nobits
	.globl	__hip_cuid_a5448badf9c8f960
__hip_cuid_a5448badf9c8f960:
	.byte	0                               ; 0x0
	.size	__hip_cuid_a5448badf9c8f960, 1

	.ident	"AMD clang version 19.0.0git (https://github.com/RadeonOpenCompute/llvm-project roc-6.4.0 25133 c7fe45cf4b819c5991fe208aaa96edf142730f1d)"
	.section	".note.GNU-stack","",@progbits
	.addrsig
	.addrsig_sym __hip_cuid_a5448badf9c8f960
	.amdgpu_metadata
---
amdhsa.kernels:
  - .args:
      - .actual_access:  read_only
        .address_space:  global
        .offset:         0
        .size:           8
        .value_kind:     global_buffer
      - .actual_access:  read_only
        .address_space:  global
        .offset:         8
        .size:           8
        .value_kind:     global_buffer
      - .actual_access:  read_only
        .address_space:  global
        .offset:         16
        .size:           8
        .value_kind:     global_buffer
      - .actual_access:  read_only
        .address_space:  global
        .offset:         24
        .size:           8
        .value_kind:     global_buffer
      - .offset:         32
        .size:           8
        .value_kind:     by_value
      - .actual_access:  read_only
        .address_space:  global
        .offset:         40
        .size:           8
        .value_kind:     global_buffer
      - .actual_access:  read_only
        .address_space:  global
        .offset:         48
        .size:           8
        .value_kind:     global_buffer
      - .offset:         56
        .size:           4
        .value_kind:     by_value
      - .actual_access:  read_only
        .address_space:  global
        .offset:         64
        .size:           8
        .value_kind:     global_buffer
      - .actual_access:  read_only
        .address_space:  global
        .offset:         72
        .size:           8
        .value_kind:     global_buffer
      - .actual_access:  read_only
        .address_space:  global
        .offset:         80
        .size:           8
        .value_kind:     global_buffer
      - .actual_access:  write_only
        .address_space:  global
        .offset:         88
        .size:           8
        .value_kind:     global_buffer
    .group_segment_fixed_size: 0
    .kernarg_segment_align: 8
    .kernarg_segment_size: 96
    .language:       OpenCL C
    .language_version:
      - 2
      - 0
    .max_flat_workgroup_size: 64
    .name:           fft_rtc_fwd_len112_factors_7_2_8_wgs_64_tpt_8_dim3_dp_op_CI_CI_sbrc_aligned_dirReg
    .private_segment_fixed_size: 0
    .sgpr_count:     38
    .sgpr_spill_count: 0
    .symbol:         fft_rtc_fwd_len112_factors_7_2_8_wgs_64_tpt_8_dim3_dp_op_CI_CI_sbrc_aligned_dirReg.kd
    .uniform_work_group_size: 1
    .uses_dynamic_stack: false
    .vgpr_count:     114
    .vgpr_spill_count: 0
    .wavefront_size: 32
    .workgroup_processor_mode: 1
amdhsa.target:   amdgcn-amd-amdhsa--gfx1030
amdhsa.version:
  - 1
  - 2
...

	.end_amdgpu_metadata
